;; amdgpu-corpus repo=ROCm/rocm-examples kind=compiled arch=gfx90a opt=O3
	.text
	.amdgcn_target "amdgcn-amd-amdhsa--gfx90a"
	.amdhsa_code_object_version 6
	.protected	_Z16histogram_kernelPjjjjP13__hip_texture ; -- Begin function _Z16histogram_kernelPjjjjP13__hip_texture
	.globl	_Z16histogram_kernelPjjjjP13__hip_texture
	.p2align	8
	.type	_Z16histogram_kernelPjjjjP13__hip_texture,@function
_Z16histogram_kernelPjjjjP13__hip_texture: ; @_Z16histogram_kernelPjjjjP13__hip_texture
; %bb.0:
	s_load_dword s0, s[4:5], 0x2c
	s_load_dwordx4 s[8:11], s[4:5], 0x8
	v_and_b32_e32 v1, 0x3ff, v0
	v_bfe_u32 v0, v0, 10, 10
	s_waitcnt lgkmcnt(0)
	s_lshr_b32 s1, s0, 16
	s_and_b32 s0, s0, 0xffff
	s_mul_i32 s6, s6, s0
	s_mul_i32 s7, s7, s1
	v_add_u32_e32 v1, s6, v1
	v_add_u32_e32 v0, s7, v0
	v_cmp_gt_u32_e32 vcc, s8, v1
	v_cmp_gt_u32_e64 s[0:1], s9, v0
	s_and_b64 s[0:1], vcc, s[0:1]
	s_and_saveexec_b64 s[2:3], s[0:1]
	s_cbranch_execz .LBB0_2
; %bb.1:
	v_cvt_f32_u32_e32 v1, v1
	v_cvt_f32_u32_e32 v2, s8
	;; [unrolled: 1-line block ×4, first 2 shown]
	s_load_dwordx2 s[2:3], s[4:5], 0x18
	v_div_scale_f32 v3, s[0:1], v2, v2, v1
	v_rcp_f32_e32 v4, v3
	v_div_scale_f32 v5, vcc, v1, v2, v1
	s_waitcnt lgkmcnt(0)
	s_load_dwordx4 s[20:23], s[2:3], 0x30
	v_fma_f32 v6, -v3, v4, 1.0
	v_fmac_f32_e32 v4, v6, v4
	v_mul_f32_e32 v6, v5, v4
	v_fma_f32 v8, -v3, v6, v5
	v_fmac_f32_e32 v6, v8, v4
	v_div_scale_f32 v8, s[0:1], v7, v7, v0
	v_rcp_f32_e32 v9, v8
	v_fma_f32 v3, -v3, v6, v5
	v_div_fmas_f32 v3, v3, v4, v6
	s_load_dwordx8 s[12:19], s[2:3], 0x0
	v_fma_f32 v4, -v8, v9, 1.0
	v_fmac_f32_e32 v9, v4, v9
	v_div_scale_f32 v4, vcc, v0, v7, v0
	v_mul_f32_e32 v5, v4, v9
	v_fma_f32 v6, -v8, v5, v4
	v_fmac_f32_e32 v5, v6, v9
	v_fma_f32 v4, -v8, v5, v4
	s_waitcnt lgkmcnt(0)
	s_bitcmp0_b32 s22, 20
	v_div_fmas_f32 v4, v4, v9, v5
	s_cselect_b64 vcc, -1, 0
	s_bitcmp0_b32 s20, 15
	s_cselect_b64 s[0:1], -1, 0
	s_bfe_u32 s6, s14, 0xe000e
	s_add_i32 s6, s6, 1
	v_div_fixup_f32 v0, v4, v7, v0
	v_cvt_f32_u32_e32 v4, s6
	s_load_dword s2, s[2:3], 0x28
	v_div_fixup_f32 v1, v3, v2, v1
	v_add_f32_e32 v2, 0.5, v1
	v_cndmask_b32_e64 v1, 1.0, v4, s[0:1]
	v_rcp_f32_e32 v3, v1
	s_waitcnt lgkmcnt(0)
	v_cvt_f32_u32_e32 v4, s2
	v_add_f32_e32 v0, 0.5, v0
	v_mul_f32_e32 v1, v0, v1
	v_floor_f32_e32 v1, v1
	v_mul_f32_e32 v1, v3, v1
	v_cndmask_b32_e64 v3, 1.0, v4, s[0:1]
	v_rcp_f32_e32 v4, v3
	v_cndmask_b32_e32 v1, v0, v1, vcc
	v_mul_f32_e32 v0, v2, v3
	v_floor_f32_e32 v0, v0
	v_mul_f32_e32 v0, v4, v0
	v_cndmask_b32_e32 v0, v2, v0, vcc
	image_sample v0, v[0:1], s[12:19], s[20:23] dmask:0x1
	v_cvt_f32_u32_e32 v1, s10
	s_sub_i32 s2, 0, s10
	s_add_i32 s1, s10, 0xff
	v_rcp_iflag_f32_e32 v1, v1
	v_mul_f32_e32 v1, 0x4f7ffffe, v1
	v_cvt_u32_f32_e32 v1, v1
	v_readfirstlane_b32 s0, v1
	s_mul_i32 s2, s2, s0
	s_mul_hi_u32 s2, s0, s2
	s_add_i32 s0, s0, s2
	s_mul_hi_u32 s0, s1, s0
	s_mul_i32 s2, s0, s10
	s_sub_i32 s1, s1, s2
	s_add_i32 s3, s0, 1
	s_sub_i32 s2, s1, s10
	s_cmp_ge_u32 s1, s10
	s_cselect_b32 s0, s3, s0
	s_cselect_b32 s1, s2, s1
	s_add_i32 s2, s0, 1
	s_cmp_ge_u32 s1, s10
	s_cselect_b32 s2, s2, s0
	v_cvt_f32_u32_e32 v1, s2
	s_sub_i32 s3, 0, s2
	s_load_dwordx2 s[0:1], s[4:5], 0x0
	v_rcp_iflag_f32_e32 v1, v1
	v_mul_f32_e32 v1, 0x4f7ffffe, v1
	v_cvt_u32_f32_e32 v1, v1
	v_mul_lo_u32 v2, s3, v1
	v_mul_hi_u32 v2, v1, v2
	v_add_u32_e32 v1, v1, v2
	s_waitcnt vmcnt(0)
	v_and_b32_e32 v0, 0xff, v0
	v_mul_hi_u32 v1, v0, v1
	v_mul_lo_u32 v2, v1, s2
	v_sub_u32_e32 v0, v0, v2
	v_add_u32_e32 v3, 1, v1
	v_cmp_le_u32_e32 vcc, s2, v0
	v_subrev_u32_e32 v2, s2, v0
	v_cndmask_b32_e32 v1, v1, v3, vcc
	v_cndmask_b32_e32 v0, v0, v2, vcc
	v_add_u32_e32 v2, 1, v1
	v_cmp_le_u32_e32 vcc, s2, v0
	v_cndmask_b32_e32 v0, v1, v2, vcc
	v_lshlrev_b32_e32 v0, 2, v0
	v_mov_b32_e32 v1, 1
	s_waitcnt lgkmcnt(0)
	global_atomic_add v0, v1, s[0:1]
.LBB0_2:
	s_endpgm
	.section	.rodata,"a",@progbits
	.p2align	6, 0x0
	.amdhsa_kernel _Z16histogram_kernelPjjjjP13__hip_texture
		.amdhsa_group_segment_fixed_size 0
		.amdhsa_private_segment_fixed_size 0
		.amdhsa_kernarg_size 288
		.amdhsa_user_sgpr_count 6
		.amdhsa_user_sgpr_private_segment_buffer 1
		.amdhsa_user_sgpr_dispatch_ptr 0
		.amdhsa_user_sgpr_queue_ptr 0
		.amdhsa_user_sgpr_kernarg_segment_ptr 1
		.amdhsa_user_sgpr_dispatch_id 0
		.amdhsa_user_sgpr_flat_scratch_init 0
		.amdhsa_user_sgpr_kernarg_preload_length 0
		.amdhsa_user_sgpr_kernarg_preload_offset 0
		.amdhsa_user_sgpr_private_segment_size 0
		.amdhsa_uses_dynamic_stack 0
		.amdhsa_system_sgpr_private_segment_wavefront_offset 0
		.amdhsa_system_sgpr_workgroup_id_x 1
		.amdhsa_system_sgpr_workgroup_id_y 1
		.amdhsa_system_sgpr_workgroup_id_z 0
		.amdhsa_system_sgpr_workgroup_info 0
		.amdhsa_system_vgpr_workitem_id 1
		.amdhsa_next_free_vgpr 10
		.amdhsa_next_free_sgpr 24
		.amdhsa_accum_offset 12
		.amdhsa_reserve_vcc 1
		.amdhsa_reserve_flat_scratch 0
		.amdhsa_float_round_mode_32 0
		.amdhsa_float_round_mode_16_64 0
		.amdhsa_float_denorm_mode_32 3
		.amdhsa_float_denorm_mode_16_64 3
		.amdhsa_dx10_clamp 1
		.amdhsa_ieee_mode 1
		.amdhsa_fp16_overflow 0
		.amdhsa_tg_split 0
		.amdhsa_exception_fp_ieee_invalid_op 0
		.amdhsa_exception_fp_denorm_src 0
		.amdhsa_exception_fp_ieee_div_zero 0
		.amdhsa_exception_fp_ieee_overflow 0
		.amdhsa_exception_fp_ieee_underflow 0
		.amdhsa_exception_fp_ieee_inexact 0
		.amdhsa_exception_int_div_zero 0
	.end_amdhsa_kernel
	.text
.Lfunc_end0:
	.size	_Z16histogram_kernelPjjjjP13__hip_texture, .Lfunc_end0-_Z16histogram_kernelPjjjjP13__hip_texture
                                        ; -- End function
	.section	.AMDGPU.csdata,"",@progbits
; Kernel info:
; codeLenInByte = 632
; NumSgprs: 28
; NumVgprs: 10
; NumAgprs: 0
; TotalNumVgprs: 10
; ScratchSize: 0
; MemoryBound: 0
; FloatMode: 240
; IeeeMode: 1
; LDSByteSize: 0 bytes/workgroup (compile time only)
; SGPRBlocks: 3
; VGPRBlocks: 1
; NumSGPRsForWavesPerEU: 28
; NumVGPRsForWavesPerEU: 10
; AccumOffset: 12
; Occupancy: 8
; WaveLimiterHint : 0
; COMPUTE_PGM_RSRC2:SCRATCH_EN: 0
; COMPUTE_PGM_RSRC2:USER_SGPR: 6
; COMPUTE_PGM_RSRC2:TRAP_HANDLER: 0
; COMPUTE_PGM_RSRC2:TGID_X_EN: 1
; COMPUTE_PGM_RSRC2:TGID_Y_EN: 1
; COMPUTE_PGM_RSRC2:TGID_Z_EN: 0
; COMPUTE_PGM_RSRC2:TIDIG_COMP_CNT: 1
; COMPUTE_PGM_RSRC3_GFX90A:ACCUM_OFFSET: 2
; COMPUTE_PGM_RSRC3_GFX90A:TG_SPLIT: 0
	.text
	.p2alignl 6, 3212836864
	.fill 256, 4, 3212836864
	.type	__hip_cuid_f133609fc339e48c,@object ; @__hip_cuid_f133609fc339e48c
	.section	.bss,"aw",@nobits
	.globl	__hip_cuid_f133609fc339e48c
__hip_cuid_f133609fc339e48c:
	.byte	0                               ; 0x0
	.size	__hip_cuid_f133609fc339e48c, 1

	.ident	"AMD clang version 19.0.0git (https://github.com/RadeonOpenCompute/llvm-project roc-6.4.0 25133 c7fe45cf4b819c5991fe208aaa96edf142730f1d)"
	.section	".note.GNU-stack","",@progbits
	.addrsig
	.addrsig_sym __hip_cuid_f133609fc339e48c
	.amdgpu_metadata
---
amdhsa.kernels:
  - .agpr_count:     0
    .args:
      - .address_space:  global
        .offset:         0
        .size:           8
        .value_kind:     global_buffer
      - .offset:         8
        .size:           4
        .value_kind:     by_value
      - .offset:         12
        .size:           4
        .value_kind:     by_value
      - .offset:         16
        .size:           4
        .value_kind:     by_value
      - .address_space:  global
        .offset:         24
        .size:           8
        .value_kind:     global_buffer
      - .offset:         32
        .size:           4
        .value_kind:     hidden_block_count_x
      - .offset:         36
        .size:           4
        .value_kind:     hidden_block_count_y
      - .offset:         40
        .size:           4
        .value_kind:     hidden_block_count_z
      - .offset:         44
        .size:           2
        .value_kind:     hidden_group_size_x
      - .offset:         46
        .size:           2
        .value_kind:     hidden_group_size_y
      - .offset:         48
        .size:           2
        .value_kind:     hidden_group_size_z
      - .offset:         50
        .size:           2
        .value_kind:     hidden_remainder_x
      - .offset:         52
        .size:           2
        .value_kind:     hidden_remainder_y
      - .offset:         54
        .size:           2
        .value_kind:     hidden_remainder_z
      - .offset:         72
        .size:           8
        .value_kind:     hidden_global_offset_x
      - .offset:         80
        .size:           8
        .value_kind:     hidden_global_offset_y
      - .offset:         88
        .size:           8
        .value_kind:     hidden_global_offset_z
      - .offset:         96
        .size:           2
        .value_kind:     hidden_grid_dims
    .group_segment_fixed_size: 0
    .kernarg_segment_align: 8
    .kernarg_segment_size: 288
    .language:       OpenCL C
    .language_version:
      - 2
      - 0
    .max_flat_workgroup_size: 1024
    .name:           _Z16histogram_kernelPjjjjP13__hip_texture
    .private_segment_fixed_size: 0
    .sgpr_count:     28
    .sgpr_spill_count: 0
    .symbol:         _Z16histogram_kernelPjjjjP13__hip_texture.kd
    .uniform_work_group_size: 1
    .uses_dynamic_stack: false
    .vgpr_count:     10
    .vgpr_spill_count: 0
    .wavefront_size: 64
amdhsa.target:   amdgcn-amd-amdhsa--gfx90a
amdhsa.version:
  - 1
  - 2
...

	.end_amdgpu_metadata
